;; amdgpu-corpus repo=ROCm/rocFFT kind=compiled arch=gfx1100 opt=O3
	.text
	.amdgcn_target "amdgcn-amd-amdhsa--gfx1100"
	.amdhsa_code_object_version 6
	.protected	fft_rtc_fwd_len392_factors_8_7_7_wgs_56_tpt_56_dp_op_CI_CI_unitstride_sbrr_C2R_dirReg ; -- Begin function fft_rtc_fwd_len392_factors_8_7_7_wgs_56_tpt_56_dp_op_CI_CI_unitstride_sbrr_C2R_dirReg
	.globl	fft_rtc_fwd_len392_factors_8_7_7_wgs_56_tpt_56_dp_op_CI_CI_unitstride_sbrr_C2R_dirReg
	.p2align	8
	.type	fft_rtc_fwd_len392_factors_8_7_7_wgs_56_tpt_56_dp_op_CI_CI_unitstride_sbrr_C2R_dirReg,@function
fft_rtc_fwd_len392_factors_8_7_7_wgs_56_tpt_56_dp_op_CI_CI_unitstride_sbrr_C2R_dirReg: ; @fft_rtc_fwd_len392_factors_8_7_7_wgs_56_tpt_56_dp_op_CI_CI_unitstride_sbrr_C2R_dirReg
; %bb.0:
	s_clause 0x2
	s_load_b128 s[8:11], s[0:1], 0x0
	s_load_b128 s[4:7], s[0:1], 0x58
	;; [unrolled: 1-line block ×3, first 2 shown]
	v_mul_u32_u24_e32 v1, 0x493, v0
	v_mov_b32_e32 v3, 0
	s_delay_alu instid0(VALU_DEP_2) | instskip(NEXT) | instid1(VALU_DEP_1)
	v_lshrrev_b32_e32 v1, 16, v1
	v_add_nc_u32_e32 v5, s15, v1
	v_mov_b32_e32 v1, 0
	v_mov_b32_e32 v2, 0
	;; [unrolled: 1-line block ×3, first 2 shown]
	s_waitcnt lgkmcnt(0)
	v_cmp_lt_u64_e64 s2, s[10:11], 2
	s_delay_alu instid0(VALU_DEP_1)
	s_and_b32 vcc_lo, exec_lo, s2
	s_cbranch_vccnz .LBB0_8
; %bb.1:
	s_load_b64 s[2:3], s[0:1], 0x10
	v_mov_b32_e32 v1, 0
	v_mov_b32_e32 v2, 0
	s_add_u32 s12, s18, 8
	s_addc_u32 s13, s19, 0
	s_add_u32 s14, s16, 8
	s_addc_u32 s15, s17, 0
	v_dual_mov_b32 v33, v2 :: v_dual_mov_b32 v32, v1
	s_mov_b64 s[22:23], 1
	s_waitcnt lgkmcnt(0)
	s_add_u32 s20, s2, 8
	s_addc_u32 s21, s3, 0
.LBB0_2:                                ; =>This Inner Loop Header: Depth=1
	s_load_b64 s[24:25], s[20:21], 0x0
                                        ; implicit-def: $vgpr34_vgpr35
	s_mov_b32 s2, exec_lo
	s_waitcnt lgkmcnt(0)
	v_or_b32_e32 v4, s25, v6
	s_delay_alu instid0(VALU_DEP_1)
	v_cmpx_ne_u64_e32 0, v[3:4]
	s_xor_b32 s3, exec_lo, s2
	s_cbranch_execz .LBB0_4
; %bb.3:                                ;   in Loop: Header=BB0_2 Depth=1
	v_cvt_f32_u32_e32 v4, s24
	v_cvt_f32_u32_e32 v7, s25
	s_sub_u32 s2, 0, s24
	s_subb_u32 s26, 0, s25
	s_delay_alu instid0(VALU_DEP_1) | instskip(NEXT) | instid1(VALU_DEP_1)
	v_fmac_f32_e32 v4, 0x4f800000, v7
	v_rcp_f32_e32 v4, v4
	s_waitcnt_depctr 0xfff
	v_mul_f32_e32 v4, 0x5f7ffffc, v4
	s_delay_alu instid0(VALU_DEP_1) | instskip(NEXT) | instid1(VALU_DEP_1)
	v_mul_f32_e32 v7, 0x2f800000, v4
	v_trunc_f32_e32 v7, v7
	s_delay_alu instid0(VALU_DEP_1) | instskip(SKIP_1) | instid1(VALU_DEP_2)
	v_fmac_f32_e32 v4, 0xcf800000, v7
	v_cvt_u32_f32_e32 v7, v7
	v_cvt_u32_f32_e32 v4, v4
	s_delay_alu instid0(VALU_DEP_2) | instskip(NEXT) | instid1(VALU_DEP_2)
	v_mul_lo_u32 v8, s2, v7
	v_mul_hi_u32 v9, s2, v4
	v_mul_lo_u32 v10, s26, v4
	s_delay_alu instid0(VALU_DEP_2) | instskip(SKIP_1) | instid1(VALU_DEP_2)
	v_add_nc_u32_e32 v8, v9, v8
	v_mul_lo_u32 v9, s2, v4
	v_add_nc_u32_e32 v8, v8, v10
	s_delay_alu instid0(VALU_DEP_2) | instskip(NEXT) | instid1(VALU_DEP_2)
	v_mul_hi_u32 v10, v4, v9
	v_mul_lo_u32 v11, v4, v8
	v_mul_hi_u32 v12, v4, v8
	v_mul_hi_u32 v13, v7, v9
	v_mul_lo_u32 v9, v7, v9
	v_mul_hi_u32 v14, v7, v8
	v_mul_lo_u32 v8, v7, v8
	v_add_co_u32 v10, vcc_lo, v10, v11
	v_add_co_ci_u32_e32 v11, vcc_lo, 0, v12, vcc_lo
	s_delay_alu instid0(VALU_DEP_2) | instskip(NEXT) | instid1(VALU_DEP_2)
	v_add_co_u32 v9, vcc_lo, v10, v9
	v_add_co_ci_u32_e32 v9, vcc_lo, v11, v13, vcc_lo
	v_add_co_ci_u32_e32 v10, vcc_lo, 0, v14, vcc_lo
	s_delay_alu instid0(VALU_DEP_2) | instskip(NEXT) | instid1(VALU_DEP_2)
	v_add_co_u32 v8, vcc_lo, v9, v8
	v_add_co_ci_u32_e32 v9, vcc_lo, 0, v10, vcc_lo
	s_delay_alu instid0(VALU_DEP_2) | instskip(NEXT) | instid1(VALU_DEP_2)
	v_add_co_u32 v4, vcc_lo, v4, v8
	v_add_co_ci_u32_e32 v7, vcc_lo, v7, v9, vcc_lo
	s_delay_alu instid0(VALU_DEP_2) | instskip(SKIP_1) | instid1(VALU_DEP_3)
	v_mul_hi_u32 v8, s2, v4
	v_mul_lo_u32 v10, s26, v4
	v_mul_lo_u32 v9, s2, v7
	s_delay_alu instid0(VALU_DEP_1) | instskip(SKIP_1) | instid1(VALU_DEP_2)
	v_add_nc_u32_e32 v8, v8, v9
	v_mul_lo_u32 v9, s2, v4
	v_add_nc_u32_e32 v8, v8, v10
	s_delay_alu instid0(VALU_DEP_2) | instskip(NEXT) | instid1(VALU_DEP_2)
	v_mul_hi_u32 v10, v4, v9
	v_mul_lo_u32 v11, v4, v8
	v_mul_hi_u32 v12, v4, v8
	v_mul_hi_u32 v13, v7, v9
	v_mul_lo_u32 v9, v7, v9
	v_mul_hi_u32 v14, v7, v8
	v_mul_lo_u32 v8, v7, v8
	v_add_co_u32 v10, vcc_lo, v10, v11
	v_add_co_ci_u32_e32 v11, vcc_lo, 0, v12, vcc_lo
	s_delay_alu instid0(VALU_DEP_2) | instskip(NEXT) | instid1(VALU_DEP_2)
	v_add_co_u32 v9, vcc_lo, v10, v9
	v_add_co_ci_u32_e32 v9, vcc_lo, v11, v13, vcc_lo
	v_add_co_ci_u32_e32 v10, vcc_lo, 0, v14, vcc_lo
	s_delay_alu instid0(VALU_DEP_2) | instskip(NEXT) | instid1(VALU_DEP_2)
	v_add_co_u32 v8, vcc_lo, v9, v8
	v_add_co_ci_u32_e32 v9, vcc_lo, 0, v10, vcc_lo
	s_delay_alu instid0(VALU_DEP_2) | instskip(NEXT) | instid1(VALU_DEP_2)
	v_add_co_u32 v4, vcc_lo, v4, v8
	v_add_co_ci_u32_e32 v13, vcc_lo, v7, v9, vcc_lo
	s_delay_alu instid0(VALU_DEP_2) | instskip(SKIP_1) | instid1(VALU_DEP_3)
	v_mul_hi_u32 v14, v5, v4
	v_mad_u64_u32 v[9:10], null, v6, v4, 0
	v_mad_u64_u32 v[7:8], null, v5, v13, 0
	;; [unrolled: 1-line block ×3, first 2 shown]
	s_delay_alu instid0(VALU_DEP_2) | instskip(NEXT) | instid1(VALU_DEP_3)
	v_add_co_u32 v4, vcc_lo, v14, v7
	v_add_co_ci_u32_e32 v7, vcc_lo, 0, v8, vcc_lo
	s_delay_alu instid0(VALU_DEP_2) | instskip(NEXT) | instid1(VALU_DEP_2)
	v_add_co_u32 v4, vcc_lo, v4, v9
	v_add_co_ci_u32_e32 v4, vcc_lo, v7, v10, vcc_lo
	v_add_co_ci_u32_e32 v7, vcc_lo, 0, v12, vcc_lo
	s_delay_alu instid0(VALU_DEP_2) | instskip(NEXT) | instid1(VALU_DEP_2)
	v_add_co_u32 v4, vcc_lo, v4, v11
	v_add_co_ci_u32_e32 v9, vcc_lo, 0, v7, vcc_lo
	s_delay_alu instid0(VALU_DEP_2) | instskip(SKIP_1) | instid1(VALU_DEP_3)
	v_mul_lo_u32 v10, s25, v4
	v_mad_u64_u32 v[7:8], null, s24, v4, 0
	v_mul_lo_u32 v11, s24, v9
	s_delay_alu instid0(VALU_DEP_2) | instskip(NEXT) | instid1(VALU_DEP_2)
	v_sub_co_u32 v7, vcc_lo, v5, v7
	v_add3_u32 v8, v8, v11, v10
	s_delay_alu instid0(VALU_DEP_1) | instskip(NEXT) | instid1(VALU_DEP_1)
	v_sub_nc_u32_e32 v10, v6, v8
	v_subrev_co_ci_u32_e64 v10, s2, s25, v10, vcc_lo
	v_add_co_u32 v11, s2, v4, 2
	s_delay_alu instid0(VALU_DEP_1) | instskip(SKIP_3) | instid1(VALU_DEP_3)
	v_add_co_ci_u32_e64 v12, s2, 0, v9, s2
	v_sub_co_u32 v13, s2, v7, s24
	v_sub_co_ci_u32_e32 v8, vcc_lo, v6, v8, vcc_lo
	v_subrev_co_ci_u32_e64 v10, s2, 0, v10, s2
	v_cmp_le_u32_e32 vcc_lo, s24, v13
	s_delay_alu instid0(VALU_DEP_3) | instskip(SKIP_1) | instid1(VALU_DEP_4)
	v_cmp_eq_u32_e64 s2, s25, v8
	v_cndmask_b32_e64 v13, 0, -1, vcc_lo
	v_cmp_le_u32_e32 vcc_lo, s25, v10
	v_cndmask_b32_e64 v14, 0, -1, vcc_lo
	v_cmp_le_u32_e32 vcc_lo, s24, v7
	;; [unrolled: 2-line block ×3, first 2 shown]
	v_cndmask_b32_e64 v15, 0, -1, vcc_lo
	v_cmp_eq_u32_e32 vcc_lo, s25, v10
	s_delay_alu instid0(VALU_DEP_2) | instskip(SKIP_3) | instid1(VALU_DEP_3)
	v_cndmask_b32_e64 v7, v15, v7, s2
	v_cndmask_b32_e32 v10, v14, v13, vcc_lo
	v_add_co_u32 v13, vcc_lo, v4, 1
	v_add_co_ci_u32_e32 v14, vcc_lo, 0, v9, vcc_lo
	v_cmp_ne_u32_e32 vcc_lo, 0, v10
	s_delay_alu instid0(VALU_DEP_2) | instskip(NEXT) | instid1(VALU_DEP_4)
	v_cndmask_b32_e32 v8, v14, v12, vcc_lo
	v_cndmask_b32_e32 v10, v13, v11, vcc_lo
	v_cmp_ne_u32_e32 vcc_lo, 0, v7
	s_delay_alu instid0(VALU_DEP_2)
	v_dual_cndmask_b32 v35, v9, v8 :: v_dual_cndmask_b32 v34, v4, v10
.LBB0_4:                                ;   in Loop: Header=BB0_2 Depth=1
	s_and_not1_saveexec_b32 s2, s3
	s_cbranch_execz .LBB0_6
; %bb.5:                                ;   in Loop: Header=BB0_2 Depth=1
	v_cvt_f32_u32_e32 v4, s24
	s_sub_i32 s3, 0, s24
	v_mov_b32_e32 v35, v3
	s_delay_alu instid0(VALU_DEP_2) | instskip(SKIP_2) | instid1(VALU_DEP_1)
	v_rcp_iflag_f32_e32 v4, v4
	s_waitcnt_depctr 0xfff
	v_mul_f32_e32 v4, 0x4f7ffffe, v4
	v_cvt_u32_f32_e32 v4, v4
	s_delay_alu instid0(VALU_DEP_1) | instskip(NEXT) | instid1(VALU_DEP_1)
	v_mul_lo_u32 v7, s3, v4
	v_mul_hi_u32 v7, v4, v7
	s_delay_alu instid0(VALU_DEP_1) | instskip(NEXT) | instid1(VALU_DEP_1)
	v_add_nc_u32_e32 v4, v4, v7
	v_mul_hi_u32 v4, v5, v4
	s_delay_alu instid0(VALU_DEP_1) | instskip(SKIP_1) | instid1(VALU_DEP_2)
	v_mul_lo_u32 v7, v4, s24
	v_add_nc_u32_e32 v8, 1, v4
	v_sub_nc_u32_e32 v7, v5, v7
	s_delay_alu instid0(VALU_DEP_1) | instskip(SKIP_1) | instid1(VALU_DEP_2)
	v_subrev_nc_u32_e32 v9, s24, v7
	v_cmp_le_u32_e32 vcc_lo, s24, v7
	v_dual_cndmask_b32 v7, v7, v9 :: v_dual_cndmask_b32 v4, v4, v8
	s_delay_alu instid0(VALU_DEP_1) | instskip(NEXT) | instid1(VALU_DEP_2)
	v_cmp_le_u32_e32 vcc_lo, s24, v7
	v_add_nc_u32_e32 v8, 1, v4
	s_delay_alu instid0(VALU_DEP_1)
	v_cndmask_b32_e32 v34, v4, v8, vcc_lo
.LBB0_6:                                ;   in Loop: Header=BB0_2 Depth=1
	s_or_b32 exec_lo, exec_lo, s2
	s_delay_alu instid0(VALU_DEP_1) | instskip(NEXT) | instid1(VALU_DEP_2)
	v_mul_lo_u32 v4, v35, s24
	v_mul_lo_u32 v9, v34, s25
	s_load_b64 s[2:3], s[14:15], 0x0
	v_mad_u64_u32 v[7:8], null, v34, s24, 0
	s_load_b64 s[24:25], s[12:13], 0x0
	s_add_u32 s22, s22, 1
	s_addc_u32 s23, s23, 0
	s_add_u32 s12, s12, 8
	s_addc_u32 s13, s13, 0
	s_add_u32 s14, s14, 8
	s_delay_alu instid0(VALU_DEP_1) | instskip(SKIP_3) | instid1(VALU_DEP_2)
	v_add3_u32 v4, v8, v9, v4
	v_sub_co_u32 v8, vcc_lo, v5, v7
	s_addc_u32 s15, s15, 0
	s_add_u32 s20, s20, 8
	v_sub_co_ci_u32_e32 v6, vcc_lo, v6, v4, vcc_lo
	s_addc_u32 s21, s21, 0
	s_waitcnt lgkmcnt(0)
	s_delay_alu instid0(VALU_DEP_1)
	v_mul_lo_u32 v9, s2, v6
	v_mul_lo_u32 v10, s3, v8
	v_mad_u64_u32 v[4:5], null, s2, v8, v[1:2]
	v_mul_lo_u32 v11, s24, v6
	v_mul_lo_u32 v12, s25, v8
	v_mad_u64_u32 v[6:7], null, s24, v8, v[32:33]
	v_cmp_ge_u64_e64 s2, s[22:23], s[10:11]
	v_add3_u32 v2, v10, v5, v9
	s_delay_alu instid0(VALU_DEP_3) | instskip(NEXT) | instid1(VALU_DEP_4)
	v_dual_mov_b32 v1, v4 :: v_dual_mov_b32 v32, v6
	v_add3_u32 v33, v12, v7, v11
	s_delay_alu instid0(VALU_DEP_4)
	s_and_b32 vcc_lo, exec_lo, s2
	s_cbranch_vccnz .LBB0_9
; %bb.7:                                ;   in Loop: Header=BB0_2 Depth=1
	v_dual_mov_b32 v5, v34 :: v_dual_mov_b32 v6, v35
	s_branch .LBB0_2
.LBB0_8:
	v_dual_mov_b32 v33, v2 :: v_dual_mov_b32 v32, v1
	v_dual_mov_b32 v35, v6 :: v_dual_mov_b32 v34, v5
.LBB0_9:
	s_load_b64 s[0:1], s[0:1], 0x28
	v_mul_hi_u32 v3, 0x4924925, v0
	s_lshl_b64 s[10:11], s[10:11], 3
                                        ; implicit-def: $vgpr36
	s_delay_alu instid0(SALU_CYCLE_1) | instskip(SKIP_4) | instid1(VALU_DEP_1)
	s_add_u32 s2, s18, s10
	s_addc_u32 s3, s19, s11
	s_waitcnt lgkmcnt(0)
	v_cmp_gt_u64_e32 vcc_lo, s[0:1], v[34:35]
	v_cmp_le_u64_e64 s0, s[0:1], v[34:35]
	s_and_saveexec_b32 s1, s0
	s_delay_alu instid0(SALU_CYCLE_1)
	s_xor_b32 s0, exec_lo, s1
; %bb.10:
	v_mul_u32_u24_e32 v1, 56, v3
                                        ; implicit-def: $vgpr3
	s_delay_alu instid0(VALU_DEP_1)
	v_sub_nc_u32_e32 v36, v0, v1
                                        ; implicit-def: $vgpr0
                                        ; implicit-def: $vgpr1_vgpr2
; %bb.11:
	s_or_saveexec_b32 s1, s0
	s_load_b64 s[2:3], s[2:3], 0x0
	s_xor_b32 exec_lo, exec_lo, s1
	s_cbranch_execz .LBB0_15
; %bb.12:
	s_add_u32 s10, s16, s10
	s_addc_u32 s11, s17, s11
	v_lshlrev_b64 v[1:2], 4, v[1:2]
	s_load_b64 s[10:11], s[10:11], 0x0
	s_waitcnt lgkmcnt(0)
	v_mul_lo_u32 v6, s11, v34
	v_mul_lo_u32 v7, s10, v35
	v_mad_u64_u32 v[4:5], null, s10, v34, 0
	s_delay_alu instid0(VALU_DEP_1) | instskip(SKIP_1) | instid1(VALU_DEP_2)
	v_add3_u32 v5, v5, v7, v6
	v_mul_u32_u24_e32 v6, 56, v3
	v_lshlrev_b64 v[3:4], 4, v[4:5]
	s_delay_alu instid0(VALU_DEP_2) | instskip(NEXT) | instid1(VALU_DEP_1)
	v_sub_nc_u32_e32 v36, v0, v6
	v_lshlrev_b32_e32 v30, 4, v36
	s_delay_alu instid0(VALU_DEP_3) | instskip(NEXT) | instid1(VALU_DEP_1)
	v_add_co_u32 v0, s0, s4, v3
	v_add_co_ci_u32_e64 v3, s0, s5, v4, s0
	s_mov_b32 s4, exec_lo
	s_delay_alu instid0(VALU_DEP_2) | instskip(NEXT) | instid1(VALU_DEP_1)
	v_add_co_u32 v0, s0, v0, v1
	v_add_co_ci_u32_e64 v1, s0, v3, v2, s0
	s_delay_alu instid0(VALU_DEP_2) | instskip(NEXT) | instid1(VALU_DEP_1)
	v_add_co_u32 v18, s0, v0, v30
	v_add_co_ci_u32_e64 v19, s0, 0, v1, s0
	v_add_nc_u32_e32 v30, 0, v30
	s_delay_alu instid0(VALU_DEP_3) | instskip(NEXT) | instid1(VALU_DEP_1)
	v_add_co_u32 v26, s0, 0x1000, v18
	v_add_co_ci_u32_e64 v27, s0, 0, v19, s0
	s_clause 0x6
	global_load_b128 v[2:5], v[18:19], off
	global_load_b128 v[6:9], v[18:19], off offset:896
	global_load_b128 v[10:13], v[18:19], off offset:1792
	;; [unrolled: 1-line block ×6, first 2 shown]
	s_waitcnt vmcnt(6)
	ds_store_b128 v30, v[2:5]
	s_waitcnt vmcnt(5)
	ds_store_b128 v30, v[6:9] offset:896
	s_waitcnt vmcnt(4)
	ds_store_b128 v30, v[10:13] offset:1792
	;; [unrolled: 2-line block ×6, first 2 shown]
	v_cmpx_eq_u32_e32 55, v36
	s_cbranch_execz .LBB0_14
; %bb.13:
	v_add_co_u32 v0, s0, 0x1000, v0
	s_delay_alu instid0(VALU_DEP_1)
	v_add_co_ci_u32_e64 v1, s0, 0, v1, s0
	v_mov_b32_e32 v4, 0
	v_mov_b32_e32 v36, 55
	global_load_b128 v[0:3], v[0:1], off offset:2176
	s_waitcnt vmcnt(0)
	ds_store_b128 v4, v[0:3] offset:6272
.LBB0_14:
	s_or_b32 exec_lo, exec_lo, s4
.LBB0_15:
	s_delay_alu instid0(SALU_CYCLE_1)
	s_or_b32 exec_lo, exec_lo, s1
	v_lshlrev_b32_e32 v0, 4, v36
	s_waitcnt lgkmcnt(0)
	s_barrier
	buffer_gl0_inv
	s_add_u32 s1, s8, 0x1800
	v_add_nc_u32_e32 v38, 0, v0
	v_sub_nc_u32_e32 v10, 0, v0
	s_addc_u32 s4, s9, 0
	s_mov_b32 s5, exec_lo
                                        ; implicit-def: $vgpr4_vgpr5
	ds_load_b64 v[6:7], v38
	ds_load_b64 v[8:9], v10 offset:6272
	s_waitcnt lgkmcnt(0)
	v_add_f64 v[0:1], v[6:7], v[8:9]
	v_add_f64 v[2:3], v[6:7], -v[8:9]
	v_cmpx_ne_u32_e32 0, v36
	s_xor_b32 s5, exec_lo, s5
	s_cbranch_execz .LBB0_17
; %bb.16:
	v_mov_b32_e32 v37, 0
	v_add_f64 v[13:14], v[6:7], v[8:9]
	v_add_f64 v[15:16], v[6:7], -v[8:9]
	s_delay_alu instid0(VALU_DEP_3) | instskip(NEXT) | instid1(VALU_DEP_1)
	v_lshlrev_b64 v[0:1], 4, v[36:37]
	v_add_co_u32 v0, s0, s1, v0
	s_delay_alu instid0(VALU_DEP_1)
	v_add_co_ci_u32_e64 v1, s0, s4, v1, s0
	global_load_b128 v[2:5], v[0:1], off
	ds_load_b64 v[0:1], v10 offset:6280
	ds_load_b64 v[11:12], v38 offset:8
	s_waitcnt lgkmcnt(0)
	v_add_f64 v[6:7], v[0:1], v[11:12]
	v_add_f64 v[0:1], v[11:12], -v[0:1]
	s_waitcnt vmcnt(0)
	v_fma_f64 v[8:9], v[15:16], v[4:5], v[13:14]
	v_fma_f64 v[11:12], -v[15:16], v[4:5], v[13:14]
	s_delay_alu instid0(VALU_DEP_3) | instskip(SKIP_1) | instid1(VALU_DEP_4)
	v_fma_f64 v[13:14], v[6:7], v[4:5], -v[0:1]
	v_fma_f64 v[4:5], v[6:7], v[4:5], v[0:1]
	v_fma_f64 v[0:1], -v[6:7], v[2:3], v[8:9]
	s_delay_alu instid0(VALU_DEP_4) | instskip(NEXT) | instid1(VALU_DEP_4)
	v_fma_f64 v[6:7], v[6:7], v[2:3], v[11:12]
	v_fma_f64 v[8:9], v[15:16], v[2:3], v[13:14]
	s_delay_alu instid0(VALU_DEP_4)
	v_fma_f64 v[2:3], v[15:16], v[2:3], v[4:5]
	v_dual_mov_b32 v4, v36 :: v_dual_mov_b32 v5, v37
	ds_store_b128 v10, v[6:9] offset:6272
.LBB0_17:
	s_and_not1_saveexec_b32 s0, s5
	s_cbranch_execz .LBB0_19
; %bb.18:
	v_mov_b32_e32 v8, 0
	ds_load_b128 v[4:7], v8 offset:3136
	s_waitcnt lgkmcnt(0)
	v_add_f64 v[11:12], v[4:5], v[4:5]
	v_mul_f64 v[13:14], v[6:7], -2.0
	v_mov_b32_e32 v4, 0
	v_mov_b32_e32 v5, 0
	ds_store_b128 v8, v[11:14] offset:3136
.LBB0_19:
	s_or_b32 exec_lo, exec_lo, s0
	v_lshlrev_b64 v[4:5], 4, v[4:5]
	s_delay_alu instid0(VALU_DEP_1) | instskip(NEXT) | instid1(VALU_DEP_1)
	v_add_co_u32 v4, s0, s1, v4
	v_add_co_ci_u32_e64 v5, s0, s4, v5, s0
	s_mov_b32 s1, exec_lo
	s_clause 0x1
	global_load_b128 v[6:9], v[4:5], off offset:896
	global_load_b128 v[11:14], v[4:5], off offset:1792
	ds_store_b128 v38, v[0:3]
	ds_load_b128 v[0:3], v38 offset:896
	ds_load_b128 v[15:18], v10 offset:5376
	s_waitcnt lgkmcnt(0)
	v_add_f64 v[19:20], v[0:1], v[15:16]
	v_add_f64 v[21:22], v[17:18], v[2:3]
	v_add_f64 v[23:24], v[0:1], -v[15:16]
	v_add_f64 v[0:1], v[2:3], -v[17:18]
	s_waitcnt vmcnt(1)
	s_delay_alu instid0(VALU_DEP_2) | instskip(NEXT) | instid1(VALU_DEP_2)
	v_fma_f64 v[2:3], v[23:24], v[8:9], v[19:20]
	v_fma_f64 v[15:16], v[21:22], v[8:9], v[0:1]
	v_fma_f64 v[17:18], -v[23:24], v[8:9], v[19:20]
	v_fma_f64 v[8:9], v[21:22], v[8:9], -v[0:1]
	s_delay_alu instid0(VALU_DEP_4) | instskip(NEXT) | instid1(VALU_DEP_4)
	v_fma_f64 v[0:1], -v[21:22], v[6:7], v[2:3]
	v_fma_f64 v[2:3], v[23:24], v[6:7], v[15:16]
	s_delay_alu instid0(VALU_DEP_4) | instskip(NEXT) | instid1(VALU_DEP_4)
	v_fma_f64 v[15:16], v[21:22], v[6:7], v[17:18]
	v_fma_f64 v[17:18], v[23:24], v[6:7], v[8:9]
	ds_store_b128 v38, v[0:3] offset:896
	ds_store_b128 v10, v[15:18] offset:5376
	ds_load_b128 v[0:3], v38 offset:1792
	ds_load_b128 v[6:9], v10 offset:4480
	s_waitcnt lgkmcnt(0)
	v_add_f64 v[15:16], v[0:1], v[6:7]
	v_add_f64 v[17:18], v[8:9], v[2:3]
	v_add_f64 v[19:20], v[0:1], -v[6:7]
	v_add_f64 v[0:1], v[2:3], -v[8:9]
	s_waitcnt vmcnt(0)
	s_delay_alu instid0(VALU_DEP_2) | instskip(NEXT) | instid1(VALU_DEP_2)
	v_fma_f64 v[2:3], v[19:20], v[13:14], v[15:16]
	v_fma_f64 v[6:7], v[17:18], v[13:14], v[0:1]
	v_fma_f64 v[8:9], -v[19:20], v[13:14], v[15:16]
	v_fma_f64 v[13:14], v[17:18], v[13:14], -v[0:1]
	s_delay_alu instid0(VALU_DEP_4) | instskip(NEXT) | instid1(VALU_DEP_4)
	v_fma_f64 v[0:1], -v[17:18], v[11:12], v[2:3]
	v_fma_f64 v[2:3], v[19:20], v[11:12], v[6:7]
	s_delay_alu instid0(VALU_DEP_4) | instskip(NEXT) | instid1(VALU_DEP_4)
	v_fma_f64 v[6:7], v[17:18], v[11:12], v[8:9]
	v_fma_f64 v[8:9], v[19:20], v[11:12], v[13:14]
	ds_store_b128 v38, v[0:3] offset:1792
	ds_store_b128 v10, v[6:9] offset:4480
	v_cmpx_gt_u32_e32 28, v36
	s_cbranch_execz .LBB0_21
; %bb.20:
	global_load_b128 v[0:3], v[4:5], off offset:2688
	ds_load_b128 v[4:7], v38 offset:2688
	ds_load_b128 v[11:14], v10 offset:3584
	s_waitcnt lgkmcnt(0)
	v_add_f64 v[8:9], v[4:5], v[11:12]
	v_add_f64 v[15:16], v[13:14], v[6:7]
	v_add_f64 v[11:12], v[4:5], -v[11:12]
	v_add_f64 v[4:5], v[6:7], -v[13:14]
	s_waitcnt vmcnt(0)
	s_delay_alu instid0(VALU_DEP_2) | instskip(NEXT) | instid1(VALU_DEP_2)
	v_fma_f64 v[6:7], v[11:12], v[2:3], v[8:9]
	v_fma_f64 v[13:14], v[15:16], v[2:3], v[4:5]
	v_fma_f64 v[8:9], -v[11:12], v[2:3], v[8:9]
	v_fma_f64 v[17:18], v[15:16], v[2:3], -v[4:5]
	s_delay_alu instid0(VALU_DEP_4) | instskip(NEXT) | instid1(VALU_DEP_4)
	v_fma_f64 v[2:3], -v[15:16], v[0:1], v[6:7]
	v_fma_f64 v[4:5], v[11:12], v[0:1], v[13:14]
	s_delay_alu instid0(VALU_DEP_4) | instskip(NEXT) | instid1(VALU_DEP_4)
	v_fma_f64 v[6:7], v[15:16], v[0:1], v[8:9]
	v_fma_f64 v[8:9], v[11:12], v[0:1], v[17:18]
	ds_store_b128 v38, v[2:5] offset:2688
	ds_store_b128 v10, v[6:9] offset:3584
.LBB0_21:
	s_or_b32 exec_lo, exec_lo, s1
	s_waitcnt lgkmcnt(0)
	s_barrier
	buffer_gl0_inv
	s_barrier
	buffer_gl0_inv
	ds_load_b128 v[12:15], v38
	ds_load_b128 v[4:7], v38 offset:784
	ds_load_b128 v[0:3], v38 offset:1568
	;; [unrolled: 1-line block ×7, first 2 shown]
	s_mov_b32 s1, exec_lo
	s_waitcnt lgkmcnt(0)
	s_barrier
	buffer_gl0_inv
	v_cmpx_gt_u32_e32 49, v36
	s_cbranch_execz .LBB0_23
; %bb.22:
	v_add_f64 v[18:19], v[14:15], -v[18:19]
	v_add_f64 v[28:29], v[0:1], -v[28:29]
	;; [unrolled: 1-line block ×8, first 2 shown]
	s_mov_b32 s4, 0x667f3bcd
	s_mov_b32 s5, 0x3fe6a09e
	;; [unrolled: 1-line block ×4, first 2 shown]
	v_mad_u32_u24 v37, 0x70, v36, v38
	v_fma_f64 v[14:15], v[14:15], 2.0, -v[18:19]
	v_add_f64 v[39:40], v[18:19], v[28:29]
	v_fma_f64 v[6:7], v[6:7], 2.0, -v[22:23]
	v_add_f64 v[41:42], v[22:23], v[24:25]
	v_fma_f64 v[2:3], v[2:3], 2.0, -v[30:31]
	v_fma_f64 v[4:5], v[4:5], 2.0, -v[20:21]
	;; [unrolled: 1-line block ×6, first 2 shown]
	v_add_f64 v[24:25], v[20:21], -v[26:27]
	v_add_f64 v[26:27], v[16:17], -v[30:31]
	v_fma_f64 v[30:31], v[18:19], 2.0, -v[39:40]
	v_fma_f64 v[18:19], v[22:23], 2.0, -v[41:42]
	v_add_f64 v[28:29], v[14:15], -v[2:3]
	v_add_f64 v[8:9], v[4:5], -v[8:9]
	;; [unrolled: 1-line block ×4, first 2 shown]
	v_fma_f64 v[20:21], v[20:21], 2.0, -v[24:25]
	v_fma_f64 v[45:46], v[16:17], 2.0, -v[26:27]
	v_fma_f64 v[0:1], v[41:42], s[4:5], v[39:40]
	v_fma_f64 v[16:17], v[24:25], s[4:5], v[26:27]
	;; [unrolled: 1-line block ×3, first 2 shown]
	v_fma_f64 v[47:48], v[14:15], 2.0, -v[28:29]
	v_fma_f64 v[14:15], v[6:7], 2.0, -v[10:11]
	;; [unrolled: 1-line block ×4, first 2 shown]
	v_fma_f64 v[51:52], v[20:21], s[10:11], v[45:46]
	v_add_f64 v[6:7], v[28:29], v[8:9]
	v_add_f64 v[4:5], v[43:44], -v[10:11]
	v_fma_f64 v[2:3], v[24:25], s[4:5], v[0:1]
	v_fma_f64 v[0:1], v[41:42], s[10:11], v[16:17]
	;; [unrolled: 1-line block ×3, first 2 shown]
	v_add_f64 v[14:15], v[47:48], -v[14:15]
	v_add_f64 v[12:13], v[49:50], -v[12:13]
	v_fma_f64 v[8:9], v[18:19], s[10:11], v[51:52]
	v_fma_f64 v[22:23], v[28:29], 2.0, -v[6:7]
	v_fma_f64 v[20:21], v[43:44], 2.0, -v[4:5]
	v_fma_f64 v[18:19], v[39:40], 2.0, -v[2:3]
	v_fma_f64 v[16:17], v[26:27], 2.0, -v[0:1]
	v_fma_f64 v[26:27], v[30:31], 2.0, -v[10:11]
	v_fma_f64 v[30:31], v[47:48], 2.0, -v[14:15]
	v_fma_f64 v[28:29], v[49:50], 2.0, -v[12:13]
	v_fma_f64 v[24:25], v[45:46], 2.0, -v[8:9]
	ds_store_b128 v37, v[20:23] offset:32
	ds_store_b128 v37, v[16:19] offset:48
	;; [unrolled: 1-line block ×4, first 2 shown]
	ds_store_b128 v37, v[28:31]
	ds_store_b128 v37, v[24:27] offset:16
	ds_store_b128 v37, v[4:7] offset:96
	;; [unrolled: 1-line block ×3, first 2 shown]
.LBB0_23:
	s_or_b32 exec_lo, exec_lo, s1
	v_and_b32_e32 v37, 7, v36
	s_waitcnt lgkmcnt(0)
	s_barrier
	buffer_gl0_inv
	s_mov_b32 s4, 0x37e14327
	v_mul_u32_u24_e32 v0, 6, v37
	s_mov_b32 s10, 0xe976ee23
	s_mov_b32 s5, 0x3fe948f6
	;; [unrolled: 1-line block ×4, first 2 shown]
	v_lshlrev_b32_e32 v20, 4, v0
	s_mov_b32 s1, 0x3febfeb5
	s_mov_b32 s12, 0x36b3c0b5
	;; [unrolled: 1-line block ×4, first 2 shown]
	s_clause 0x5
	global_load_b128 v[0:3], v20, s[8:9]
	global_load_b128 v[4:7], v20, s[8:9] offset:16
	global_load_b128 v[8:11], v20, s[8:9] offset:80
	;; [unrolled: 1-line block ×5, first 2 shown]
	ds_load_b128 v[24:27], v38 offset:896
	ds_load_b128 v[28:31], v38 offset:1792
	;; [unrolled: 1-line block ×6, first 2 shown]
	s_mov_b32 s20, 0xb247c609
	s_mov_b32 s15, 0xbff2aaaa
	;; [unrolled: 1-line block ×11, first 2 shown]
	s_waitcnt vmcnt(5) lgkmcnt(5)
	v_mul_f64 v[55:56], v[26:27], v[2:3]
	v_mul_f64 v[2:3], v[24:25], v[2:3]
	s_waitcnt vmcnt(4) lgkmcnt(4)
	v_mul_f64 v[57:58], v[30:31], v[6:7]
	v_mul_f64 v[6:7], v[28:29], v[6:7]
	s_waitcnt vmcnt(3) lgkmcnt(3)
	v_mul_f64 v[59:60], v[41:42], v[10:11]
	v_mul_f64 v[10:11], v[39:40], v[10:11]
	s_waitcnt vmcnt(2) lgkmcnt(2)
	v_mul_f64 v[61:62], v[45:46], v[14:15]
	v_mul_f64 v[14:15], v[43:44], v[14:15]
	s_waitcnt vmcnt(1) lgkmcnt(1)
	v_mul_f64 v[63:64], v[49:50], v[18:19]
	v_mul_f64 v[18:19], v[47:48], v[18:19]
	s_waitcnt vmcnt(0) lgkmcnt(0)
	v_mul_f64 v[65:66], v[53:54], v[22:23]
	v_mul_f64 v[22:23], v[51:52], v[22:23]
	v_fma_f64 v[24:25], v[24:25], v[0:1], -v[55:56]
	v_fma_f64 v[0:1], v[26:27], v[0:1], v[2:3]
	v_fma_f64 v[2:3], v[28:29], v[4:5], -v[57:58]
	v_fma_f64 v[4:5], v[30:31], v[4:5], v[6:7]
	;; [unrolled: 2-line block ×6, first 2 shown]
	v_add_f64 v[22:23], v[24:25], v[6:7]
	v_add_f64 v[26:27], v[0:1], v[8:9]
	v_add_f64 v[28:29], v[2:3], v[10:11]
	v_add_f64 v[30:31], v[4:5], v[12:13]
	v_add_f64 v[10:11], v[2:3], -v[10:11]
	v_add_f64 v[4:5], v[4:5], -v[12:13]
	v_add_f64 v[2:3], v[14:15], v[18:19]
	v_add_f64 v[12:13], v[16:17], v[20:21]
	v_add_f64 v[14:15], v[18:19], -v[14:15]
	v_add_f64 v[16:17], v[20:21], -v[16:17]
	;; [unrolled: 1-line block ×4, first 2 shown]
	v_add_f64 v[0:1], v[28:29], v[22:23]
	v_add_f64 v[18:19], v[30:31], v[26:27]
	v_add_f64 v[20:21], v[22:23], -v[2:3]
	v_add_f64 v[24:25], v[26:27], -v[12:13]
	;; [unrolled: 1-line block ×7, first 2 shown]
	v_add_f64 v[10:11], v[14:15], v[10:11]
	v_add_f64 v[4:5], v[16:17], v[4:5]
	v_add_f64 v[14:15], v[6:7], -v[14:15]
	v_add_f64 v[16:17], v[8:9], -v[16:17]
	;; [unrolled: 1-line block ×4, first 2 shown]
	v_add_f64 v[47:48], v[2:3], v[0:1]
	v_add_f64 v[18:19], v[12:13], v[18:19]
	v_add_f64 v[12:13], v[12:13], -v[30:31]
	ds_load_b128 v[0:3], v38
	v_mul_f64 v[20:21], v[20:21], s[4:5]
	v_mul_f64 v[24:25], v[24:25], s[4:5]
	;; [unrolled: 1-line block ×7, first 2 shown]
	v_add_f64 v[6:7], v[10:11], v[6:7]
	v_add_f64 v[4:5], v[4:5], v[8:9]
	s_waitcnt lgkmcnt(0)
	s_barrier
	buffer_gl0_inv
	v_add_f64 v[0:1], v[0:1], v[47:48]
	v_add_f64 v[2:3], v[2:3], v[18:19]
	v_mul_f64 v[30:31], v[12:13], s[12:13]
	v_fma_f64 v[8:9], v[49:50], s[12:13], v[20:21]
	v_fma_f64 v[10:11], v[12:13], s[12:13], v[24:25]
	v_fma_f64 v[12:13], v[14:15], s[20:21], v[39:40]
	v_fma_f64 v[49:50], v[16:17], s[20:21], v[41:42]
	v_fma_f64 v[39:40], v[43:44], s[0:1], -v[39:40]
	v_fma_f64 v[14:15], v[14:15], s[22:23], -v[51:52]
	;; [unrolled: 1-line block ×7, first 2 shown]
	v_fma_f64 v[43:44], v[47:48], s[14:15], v[0:1]
	v_fma_f64 v[18:19], v[18:19], s[14:15], v[2:3]
	v_fma_f64 v[26:27], v[26:27], s[16:17], -v[30:31]
	v_fma_f64 v[28:29], v[6:7], s[24:25], v[12:13]
	v_fma_f64 v[30:31], v[4:5], s[24:25], v[49:50]
	;; [unrolled: 1-line block ×6, first 2 shown]
	v_add_f64 v[49:50], v[8:9], v[43:44]
	v_add_f64 v[51:52], v[10:11], v[18:19]
	;; [unrolled: 1-line block ×7, first 2 shown]
	v_add_f64 v[6:7], v[51:52], -v[28:29]
	v_add_f64 v[8:9], v[47:48], v[20:21]
	v_add_f64 v[10:11], v[24:25], -v[45:46]
	v_add_f64 v[12:13], v[16:17], -v[41:42]
	v_add_f64 v[14:15], v[39:40], v[18:19]
	v_add_f64 v[16:17], v[41:42], v[16:17]
	v_add_f64 v[18:19], v[18:19], -v[39:40]
	v_add_f64 v[20:21], v[20:21], -v[47:48]
	v_add_f64 v[22:23], v[45:46], v[24:25]
	v_add_f64 v[24:25], v[49:50], -v[30:31]
	v_add_f64 v[26:27], v[28:29], v[51:52]
	v_lshrrev_b32_e32 v28, 3, v36
	v_mul_u32_u24_e32 v29, 6, v36
	s_delay_alu instid0(VALU_DEP_2) | instskip(NEXT) | instid1(VALU_DEP_2)
	v_mul_u32_u24_e32 v28, 56, v28
	v_lshlrev_b32_e32 v29, 4, v29
	s_delay_alu instid0(VALU_DEP_2) | instskip(NEXT) | instid1(VALU_DEP_1)
	v_or_b32_e32 v28, v28, v37
	v_lshl_add_u32 v28, v28, 4, 0
	ds_store_b128 v28, v[0:3]
	ds_store_b128 v28, v[4:7] offset:128
	ds_store_b128 v28, v[8:11] offset:256
	;; [unrolled: 1-line block ×6, first 2 shown]
	s_waitcnt lgkmcnt(0)
	s_barrier
	buffer_gl0_inv
	s_clause 0x5
	global_load_b128 v[0:3], v29, s[8:9] offset:768
	global_load_b128 v[4:7], v29, s[8:9] offset:784
	;; [unrolled: 1-line block ×6, first 2 shown]
	ds_load_b128 v[24:27], v38 offset:896
	ds_load_b128 v[28:31], v38 offset:1792
	;; [unrolled: 1-line block ×6, first 2 shown]
	s_waitcnt vmcnt(5) lgkmcnt(5)
	v_mul_f64 v[55:56], v[26:27], v[2:3]
	v_mul_f64 v[2:3], v[24:25], v[2:3]
	s_waitcnt vmcnt(4) lgkmcnt(4)
	v_mul_f64 v[57:58], v[30:31], v[6:7]
	v_mul_f64 v[6:7], v[28:29], v[6:7]
	;; [unrolled: 3-line block ×6, first 2 shown]
	v_fma_f64 v[24:25], v[24:25], v[0:1], -v[55:56]
	v_fma_f64 v[0:1], v[26:27], v[0:1], v[2:3]
	v_fma_f64 v[2:3], v[28:29], v[4:5], -v[57:58]
	v_fma_f64 v[4:5], v[30:31], v[4:5], v[6:7]
	;; [unrolled: 2-line block ×6, first 2 shown]
	v_add_f64 v[22:23], v[24:25], v[6:7]
	v_add_f64 v[26:27], v[0:1], v[8:9]
	;; [unrolled: 1-line block ×4, first 2 shown]
	v_add_f64 v[10:11], v[2:3], -v[10:11]
	v_add_f64 v[4:5], v[4:5], -v[12:13]
	v_add_f64 v[2:3], v[14:15], v[18:19]
	v_add_f64 v[12:13], v[16:17], v[20:21]
	v_add_f64 v[14:15], v[18:19], -v[14:15]
	v_add_f64 v[16:17], v[20:21], -v[16:17]
	;; [unrolled: 1-line block ×4, first 2 shown]
	v_add_f64 v[0:1], v[28:29], v[22:23]
	v_add_f64 v[18:19], v[30:31], v[26:27]
	v_add_f64 v[20:21], v[22:23], -v[2:3]
	v_add_f64 v[24:25], v[26:27], -v[12:13]
	;; [unrolled: 1-line block ×7, first 2 shown]
	v_add_f64 v[10:11], v[14:15], v[10:11]
	v_add_f64 v[4:5], v[16:17], v[4:5]
	v_add_f64 v[14:15], v[6:7], -v[14:15]
	v_add_f64 v[16:17], v[8:9], -v[16:17]
	;; [unrolled: 1-line block ×4, first 2 shown]
	v_add_f64 v[47:48], v[2:3], v[0:1]
	v_add_f64 v[18:19], v[12:13], v[18:19]
	v_add_f64 v[12:13], v[12:13], -v[30:31]
	ds_load_b128 v[0:3], v38
	v_mul_f64 v[20:21], v[20:21], s[4:5]
	v_mul_f64 v[24:25], v[24:25], s[4:5]
	;; [unrolled: 1-line block ×7, first 2 shown]
	v_add_f64 v[6:7], v[10:11], v[6:7]
	v_add_f64 v[4:5], v[4:5], v[8:9]
	s_waitcnt lgkmcnt(0)
	s_barrier
	buffer_gl0_inv
	v_add_f64 v[0:1], v[0:1], v[47:48]
	v_add_f64 v[2:3], v[2:3], v[18:19]
	v_mul_f64 v[30:31], v[12:13], s[12:13]
	v_fma_f64 v[8:9], v[49:50], s[12:13], v[20:21]
	v_fma_f64 v[10:11], v[12:13], s[12:13], v[24:25]
	;; [unrolled: 1-line block ×4, first 2 shown]
	v_fma_f64 v[39:40], v[43:44], s[0:1], -v[39:40]
	v_fma_f64 v[14:15], v[14:15], s[22:23], -v[51:52]
	v_fma_f64 v[16:17], v[16:17], s[22:23], -v[53:54]
	v_fma_f64 v[20:21], v[22:23], s[18:19], -v[20:21]
	v_fma_f64 v[24:25], v[26:27], s[18:19], -v[24:25]
	v_fma_f64 v[41:42], v[45:46], s[0:1], -v[41:42]
	v_fma_f64 v[22:23], v[22:23], s[16:17], -v[28:29]
	v_fma_f64 v[43:44], v[47:48], s[14:15], v[0:1]
	v_fma_f64 v[18:19], v[18:19], s[14:15], v[2:3]
	v_fma_f64 v[26:27], v[26:27], s[16:17], -v[30:31]
	v_fma_f64 v[28:29], v[6:7], s[24:25], v[12:13]
	v_fma_f64 v[30:31], v[4:5], s[24:25], v[49:50]
	;; [unrolled: 1-line block ×6, first 2 shown]
	v_add_f64 v[49:50], v[8:9], v[43:44]
	v_add_f64 v[51:52], v[10:11], v[18:19]
	v_add_f64 v[20:21], v[20:21], v[43:44]
	v_add_f64 v[24:25], v[24:25], v[18:19]
	v_add_f64 v[16:17], v[22:23], v[43:44]
	v_add_f64 v[18:19], v[26:27], v[18:19]
	v_add_f64 v[4:5], v[30:31], v[49:50]
	v_add_f64 v[6:7], v[51:52], -v[28:29]
	v_add_f64 v[8:9], v[47:48], v[20:21]
	v_add_f64 v[10:11], v[24:25], -v[45:46]
	v_add_f64 v[12:13], v[16:17], -v[41:42]
	v_add_f64 v[14:15], v[39:40], v[18:19]
	v_add_f64 v[16:17], v[41:42], v[16:17]
	v_add_f64 v[18:19], v[18:19], -v[39:40]
	v_add_f64 v[20:21], v[20:21], -v[47:48]
	v_add_f64 v[22:23], v[45:46], v[24:25]
	v_add_f64 v[24:25], v[49:50], -v[30:31]
	v_add_f64 v[26:27], v[28:29], v[51:52]
	ds_store_b128 v38, v[0:3]
	ds_store_b128 v38, v[4:7] offset:896
	ds_store_b128 v38, v[8:11] offset:1792
	ds_store_b128 v38, v[12:15] offset:2688
	ds_store_b128 v38, v[16:19] offset:3584
	ds_store_b128 v38, v[20:23] offset:4480
	ds_store_b128 v38, v[24:27] offset:5376
	s_waitcnt lgkmcnt(0)
	s_barrier
	buffer_gl0_inv
	s_and_saveexec_b32 s0, vcc_lo
	s_cbranch_execz .LBB0_25
; %bb.24:
	v_mul_lo_u32 v2, s3, v34
	v_mul_lo_u32 v3, s2, v35
	v_mad_u64_u32 v[0:1], null, s2, v34, 0
	v_lshl_add_u32 v17, v36, 4, 0
	v_dual_mov_b32 v37, 0 :: v_dual_add_nc_u32 v10, 56, v36
	v_lshlrev_b64 v[8:9], 4, v[32:33]
	v_add_nc_u32_e32 v12, 0x70, v36
	s_delay_alu instid0(VALU_DEP_3) | instskip(SKIP_3) | instid1(VALU_DEP_3)
	v_dual_mov_b32 v11, v37 :: v_dual_add_nc_u32 v24, 0x118, v36
	v_add3_u32 v1, v1, v3, v2
	v_lshlrev_b64 v[15:16], 4, v[36:37]
	v_mov_b32_e32 v25, v37
	v_lshlrev_b64 v[13:14], 4, v[0:1]
	ds_load_b128 v[0:3], v17
	ds_load_b128 v[4:7], v17 offset:896
	v_add_co_u32 v18, vcc_lo, s6, v13
	v_add_co_ci_u32_e32 v14, vcc_lo, s7, v14, vcc_lo
	v_mov_b32_e32 v13, v37
	s_delay_alu instid0(VALU_DEP_3) | instskip(NEXT) | instid1(VALU_DEP_3)
	v_add_co_u32 v30, vcc_lo, v18, v8
	v_add_co_ci_u32_e32 v31, vcc_lo, v14, v9, vcc_lo
	v_lshlrev_b64 v[8:9], 4, v[10:11]
	s_delay_alu instid0(VALU_DEP_3) | instskip(NEXT) | instid1(VALU_DEP_3)
	v_add_co_u32 v10, vcc_lo, v30, v15
	v_add_co_ci_u32_e32 v11, vcc_lo, v31, v16, vcc_lo
	s_delay_alu instid0(VALU_DEP_3) | instskip(NEXT) | instid1(VALU_DEP_4)
	v_add_co_u32 v8, vcc_lo, v30, v8
	v_add_co_ci_u32_e32 v9, vcc_lo, v31, v9, vcc_lo
	s_waitcnt lgkmcnt(1)
	global_store_b128 v[10:11], v[0:3], off
	s_waitcnt lgkmcnt(0)
	global_store_b128 v[8:9], v[4:7], off
	v_dual_mov_b32 v1, v37 :: v_dual_add_nc_u32 v0, 0xa8, v36
	v_add_nc_u32_e32 v10, 0xe0, v36
	v_lshlrev_b64 v[12:13], 4, v[12:13]
	v_dual_mov_b32 v11, v37 :: v_dual_add_nc_u32 v36, 0x150, v36
	s_delay_alu instid0(VALU_DEP_4)
	v_lshlrev_b64 v[8:9], 4, v[0:1]
	ds_load_b128 v[0:3], v17 offset:1792
	ds_load_b128 v[4:7], v17 offset:2688
	v_lshlrev_b64 v[24:25], 4, v[24:25]
	v_add_co_u32 v20, vcc_lo, v30, v12
	v_add_co_ci_u32_e32 v21, vcc_lo, v31, v13, vcc_lo
	v_add_co_u32 v22, vcc_lo, v30, v8
	v_add_co_ci_u32_e32 v23, vcc_lo, v31, v9, vcc_lo
	v_lshlrev_b64 v[26:27], 4, v[10:11]
	ds_load_b128 v[8:11], v17 offset:3584
	ds_load_b128 v[12:15], v17 offset:4480
	;; [unrolled: 1-line block ×3, first 2 shown]
	v_lshlrev_b64 v[28:29], 4, v[36:37]
	v_add_co_u32 v26, vcc_lo, v30, v26
	v_add_co_ci_u32_e32 v27, vcc_lo, v31, v27, vcc_lo
	v_add_co_u32 v24, vcc_lo, v30, v24
	v_add_co_ci_u32_e32 v25, vcc_lo, v31, v25, vcc_lo
	;; [unrolled: 2-line block ×3, first 2 shown]
	s_waitcnt lgkmcnt(4)
	global_store_b128 v[20:21], v[0:3], off
	s_waitcnt lgkmcnt(3)
	global_store_b128 v[22:23], v[4:7], off
	;; [unrolled: 2-line block ×5, first 2 shown]
.LBB0_25:
	s_nop 0
	s_sendmsg sendmsg(MSG_DEALLOC_VGPRS)
	s_endpgm
	.section	.rodata,"a",@progbits
	.p2align	6, 0x0
	.amdhsa_kernel fft_rtc_fwd_len392_factors_8_7_7_wgs_56_tpt_56_dp_op_CI_CI_unitstride_sbrr_C2R_dirReg
		.amdhsa_group_segment_fixed_size 0
		.amdhsa_private_segment_fixed_size 0
		.amdhsa_kernarg_size 104
		.amdhsa_user_sgpr_count 15
		.amdhsa_user_sgpr_dispatch_ptr 0
		.amdhsa_user_sgpr_queue_ptr 0
		.amdhsa_user_sgpr_kernarg_segment_ptr 1
		.amdhsa_user_sgpr_dispatch_id 0
		.amdhsa_user_sgpr_private_segment_size 0
		.amdhsa_wavefront_size32 1
		.amdhsa_uses_dynamic_stack 0
		.amdhsa_enable_private_segment 0
		.amdhsa_system_sgpr_workgroup_id_x 1
		.amdhsa_system_sgpr_workgroup_id_y 0
		.amdhsa_system_sgpr_workgroup_id_z 0
		.amdhsa_system_sgpr_workgroup_info 0
		.amdhsa_system_vgpr_workitem_id 0
		.amdhsa_next_free_vgpr 67
		.amdhsa_next_free_sgpr 27
		.amdhsa_reserve_vcc 1
		.amdhsa_float_round_mode_32 0
		.amdhsa_float_round_mode_16_64 0
		.amdhsa_float_denorm_mode_32 3
		.amdhsa_float_denorm_mode_16_64 3
		.amdhsa_dx10_clamp 1
		.amdhsa_ieee_mode 1
		.amdhsa_fp16_overflow 0
		.amdhsa_workgroup_processor_mode 1
		.amdhsa_memory_ordered 1
		.amdhsa_forward_progress 0
		.amdhsa_shared_vgpr_count 0
		.amdhsa_exception_fp_ieee_invalid_op 0
		.amdhsa_exception_fp_denorm_src 0
		.amdhsa_exception_fp_ieee_div_zero 0
		.amdhsa_exception_fp_ieee_overflow 0
		.amdhsa_exception_fp_ieee_underflow 0
		.amdhsa_exception_fp_ieee_inexact 0
		.amdhsa_exception_int_div_zero 0
	.end_amdhsa_kernel
	.text
.Lfunc_end0:
	.size	fft_rtc_fwd_len392_factors_8_7_7_wgs_56_tpt_56_dp_op_CI_CI_unitstride_sbrr_C2R_dirReg, .Lfunc_end0-fft_rtc_fwd_len392_factors_8_7_7_wgs_56_tpt_56_dp_op_CI_CI_unitstride_sbrr_C2R_dirReg
                                        ; -- End function
	.section	.AMDGPU.csdata,"",@progbits
; Kernel info:
; codeLenInByte = 6088
; NumSgprs: 29
; NumVgprs: 67
; ScratchSize: 0
; MemoryBound: 0
; FloatMode: 240
; IeeeMode: 1
; LDSByteSize: 0 bytes/workgroup (compile time only)
; SGPRBlocks: 3
; VGPRBlocks: 8
; NumSGPRsForWavesPerEU: 29
; NumVGPRsForWavesPerEU: 67
; Occupancy: 16
; WaveLimiterHint : 1
; COMPUTE_PGM_RSRC2:SCRATCH_EN: 0
; COMPUTE_PGM_RSRC2:USER_SGPR: 15
; COMPUTE_PGM_RSRC2:TRAP_HANDLER: 0
; COMPUTE_PGM_RSRC2:TGID_X_EN: 1
; COMPUTE_PGM_RSRC2:TGID_Y_EN: 0
; COMPUTE_PGM_RSRC2:TGID_Z_EN: 0
; COMPUTE_PGM_RSRC2:TIDIG_COMP_CNT: 0
	.text
	.p2alignl 7, 3214868480
	.fill 96, 4, 3214868480
	.type	__hip_cuid_d65a04ef0bab5f98,@object ; @__hip_cuid_d65a04ef0bab5f98
	.section	.bss,"aw",@nobits
	.globl	__hip_cuid_d65a04ef0bab5f98
__hip_cuid_d65a04ef0bab5f98:
	.byte	0                               ; 0x0
	.size	__hip_cuid_d65a04ef0bab5f98, 1

	.ident	"AMD clang version 19.0.0git (https://github.com/RadeonOpenCompute/llvm-project roc-6.4.0 25133 c7fe45cf4b819c5991fe208aaa96edf142730f1d)"
	.section	".note.GNU-stack","",@progbits
	.addrsig
	.addrsig_sym __hip_cuid_d65a04ef0bab5f98
	.amdgpu_metadata
---
amdhsa.kernels:
  - .args:
      - .actual_access:  read_only
        .address_space:  global
        .offset:         0
        .size:           8
        .value_kind:     global_buffer
      - .offset:         8
        .size:           8
        .value_kind:     by_value
      - .actual_access:  read_only
        .address_space:  global
        .offset:         16
        .size:           8
        .value_kind:     global_buffer
      - .actual_access:  read_only
        .address_space:  global
        .offset:         24
        .size:           8
        .value_kind:     global_buffer
      - .actual_access:  read_only
        .address_space:  global
        .offset:         32
        .size:           8
        .value_kind:     global_buffer
      - .offset:         40
        .size:           8
        .value_kind:     by_value
      - .actual_access:  read_only
        .address_space:  global
        .offset:         48
        .size:           8
        .value_kind:     global_buffer
      - .actual_access:  read_only
        .address_space:  global
        .offset:         56
        .size:           8
        .value_kind:     global_buffer
      - .offset:         64
        .size:           4
        .value_kind:     by_value
      - .actual_access:  read_only
        .address_space:  global
        .offset:         72
        .size:           8
        .value_kind:     global_buffer
      - .actual_access:  read_only
        .address_space:  global
        .offset:         80
        .size:           8
        .value_kind:     global_buffer
      - .actual_access:  read_only
        .address_space:  global
        .offset:         88
        .size:           8
        .value_kind:     global_buffer
      - .actual_access:  write_only
        .address_space:  global
        .offset:         96
        .size:           8
        .value_kind:     global_buffer
    .group_segment_fixed_size: 0
    .kernarg_segment_align: 8
    .kernarg_segment_size: 104
    .language:       OpenCL C
    .language_version:
      - 2
      - 0
    .max_flat_workgroup_size: 56
    .name:           fft_rtc_fwd_len392_factors_8_7_7_wgs_56_tpt_56_dp_op_CI_CI_unitstride_sbrr_C2R_dirReg
    .private_segment_fixed_size: 0
    .sgpr_count:     29
    .sgpr_spill_count: 0
    .symbol:         fft_rtc_fwd_len392_factors_8_7_7_wgs_56_tpt_56_dp_op_CI_CI_unitstride_sbrr_C2R_dirReg.kd
    .uniform_work_group_size: 1
    .uses_dynamic_stack: false
    .vgpr_count:     67
    .vgpr_spill_count: 0
    .wavefront_size: 32
    .workgroup_processor_mode: 1
amdhsa.target:   amdgcn-amd-amdhsa--gfx1100
amdhsa.version:
  - 1
  - 2
...

	.end_amdgpu_metadata
